;; amdgpu-corpus repo=ROCm/rocFFT kind=compiled arch=gfx1030 opt=O3
	.text
	.amdgcn_target "amdgcn-amd-amdhsa--gfx1030"
	.amdhsa_code_object_version 6
	.protected	bluestein_single_fwd_len360_dim1_dp_op_CI_CI ; -- Begin function bluestein_single_fwd_len360_dim1_dp_op_CI_CI
	.globl	bluestein_single_fwd_len360_dim1_dp_op_CI_CI
	.p2align	8
	.type	bluestein_single_fwd_len360_dim1_dp_op_CI_CI,@function
bluestein_single_fwd_len360_dim1_dp_op_CI_CI: ; @bluestein_single_fwd_len360_dim1_dp_op_CI_CI
; %bb.0:
	s_load_dwordx4 s[0:3], s[4:5], 0x28
	v_mul_u32_u24_e32 v1, 0x445, v0
	v_mov_b32_e32 v81, 0
	v_lshrrev_b32_e32 v1, 16, v1
	v_lshl_add_u32 v80, s6, 2, v1
	s_waitcnt lgkmcnt(0)
	v_cmp_gt_u64_e32 vcc_lo, s[0:1], v[80:81]
	s_and_saveexec_b32 s0, vcc_lo
	s_cbranch_execz .LBB0_15
; %bb.1:
	v_mul_lo_u16 v2, v1, 60
	s_clause 0x1
	s_load_dwordx2 s[14:15], s[4:5], 0x0
	s_load_dwordx2 s[12:13], s[4:5], 0x38
	v_and_b32_e32 v1, 3, v1
	v_sub_nc_u16 v0, v0, v2
	v_mul_u32_u24_e32 v93, 0x168, v1
	v_and_b32_e32 v89, 0xffff, v0
	v_cmp_gt_u16_e32 vcc_lo, 36, v0
	v_lshlrev_b32_e32 v91, 4, v93
	v_lshlrev_b32_e32 v90, 4, v89
	s_and_saveexec_b32 s1, vcc_lo
	s_cbranch_execz .LBB0_3
; %bb.2:
	s_load_dwordx2 s[6:7], s[4:5], 0x18
	s_waitcnt lgkmcnt(0)
	s_load_dwordx4 s[8:11], s[6:7], 0x0
	s_waitcnt lgkmcnt(0)
	v_mad_u64_u32 v[16:17], null, s10, v80, 0
	v_mad_u64_u32 v[18:19], null, s8, v89, 0
	s_mul_i32 s6, s9, 0x240
	s_mul_hi_u32 s7, s8, 0x240
	s_add_i32 s7, s7, s6
	v_mov_b32_e32 v0, v17
	v_mov_b32_e32 v1, v19
	v_mad_u64_u32 v[2:3], null, s11, v80, v[0:1]
	v_mov_b32_e32 v17, v2
	v_mad_u64_u32 v[19:20], null, s9, v89, v[1:2]
	v_add_co_u32 v20, s0, s14, v90
	v_add_co_ci_u32_e64 v21, null, s15, 0, s0
	v_lshlrev_b64 v[16:17], 4, v[16:17]
	v_add_co_u32 v28, s0, 0x800, v20
	v_add_co_ci_u32_e64 v29, s0, 0, v21, s0
	v_lshlrev_b64 v[18:19], 4, v[18:19]
	v_add_co_u32 v16, s0, s2, v16
	v_add_co_ci_u32_e64 v17, s0, s3, v17, s0
	s_mul_i32 s2, s8, 0x240
	v_add_co_u32 v32, s0, v16, v18
	v_add_co_ci_u32_e64 v33, s0, v17, v19, s0
	s_clause 0x3
	global_load_dwordx4 v[0:3], v90, s[14:15]
	global_load_dwordx4 v[4:7], v90, s[14:15] offset:576
	global_load_dwordx4 v[8:11], v90, s[14:15] offset:1152
	;; [unrolled: 1-line block ×3, first 2 shown]
	v_add_co_u32 v36, s0, v32, s2
	v_add_co_ci_u32_e64 v37, s0, s7, v33, s0
	v_add_co_u32 v72, s0, 0x1000, v20
	v_add_co_ci_u32_e64 v73, s0, 0, v21, s0
	;; [unrolled: 2-line block ×3, first 2 shown]
	s_clause 0x1
	global_load_dwordx4 v[16:19], v[28:29], off offset:256
	global_load_dwordx4 v[20:23], v[28:29], off offset:832
	v_add_co_u32 v44, s0, v40, s2
	v_add_co_ci_u32_e64 v45, s0, s7, v41, s0
	s_clause 0x1
	global_load_dwordx4 v[24:27], v[28:29], off offset:1408
	global_load_dwordx4 v[28:31], v[28:29], off offset:1984
	v_add_co_u32 v48, s0, v44, s2
	v_add_co_ci_u32_e64 v49, s0, s7, v45, s0
	s_clause 0x1
	global_load_dwordx4 v[32:35], v[32:33], off
	global_load_dwordx4 v[36:39], v[36:37], off
	v_add_co_u32 v52, s0, v48, s2
	v_add_co_ci_u32_e64 v53, s0, s7, v49, s0
	s_clause 0x1
	global_load_dwordx4 v[40:43], v[40:41], off
	global_load_dwordx4 v[44:47], v[44:45], off
	v_add_co_u32 v56, s0, v52, s2
	v_add_co_ci_u32_e64 v57, s0, s7, v53, s0
	global_load_dwordx4 v[48:51], v[48:49], off
	v_add_co_u32 v60, s0, v56, s2
	v_add_co_ci_u32_e64 v61, s0, s7, v57, s0
	;; [unrolled: 3-line block ×4, first 2 shown]
	global_load_dwordx4 v[60:63], v[60:61], off
	global_load_dwordx4 v[64:67], v[64:65], off
	s_clause 0x1
	global_load_dwordx4 v[68:71], v[72:73], off offset:512
	global_load_dwordx4 v[72:75], v[72:73], off offset:1088
	global_load_dwordx4 v[76:79], v[76:77], off
	s_waitcnt vmcnt(11)
	v_mul_f64 v[81:82], v[34:35], v[2:3]
	v_mul_f64 v[2:3], v[32:33], v[2:3]
	s_waitcnt vmcnt(10)
	v_mul_f64 v[83:84], v[38:39], v[6:7]
	v_mul_f64 v[6:7], v[36:37], v[6:7]
	;; [unrolled: 3-line block ×10, first 2 shown]
	v_fma_f64 v[30:31], v[32:33], v[0:1], v[81:82]
	v_fma_f64 v[32:33], v[34:35], v[0:1], -v[2:3]
	v_fma_f64 v[0:1], v[36:37], v[4:5], v[83:84]
	v_fma_f64 v[2:3], v[38:39], v[4:5], -v[6:7]
	;; [unrolled: 2-line block ×10, first 2 shown]
	v_lshl_add_u32 v28, v89, 4, v91
	v_add_nc_u32_e32 v29, v91, v90
	ds_write_b128 v28, v[30:33]
	ds_write_b128 v29, v[0:3] offset:576
	ds_write_b128 v29, v[4:7] offset:1152
	;; [unrolled: 1-line block ×9, first 2 shown]
.LBB0_3:
	s_or_b32 exec_lo, exec_lo, s1
	s_load_dwordx2 s[0:1], s[4:5], 0x20
	s_waitcnt lgkmcnt(0)
	s_barrier
	buffer_gl0_inv
                                        ; implicit-def: $vgpr0_vgpr1
                                        ; implicit-def: $vgpr4_vgpr5
                                        ; implicit-def: $vgpr8_vgpr9
                                        ; implicit-def: $vgpr12_vgpr13
                                        ; implicit-def: $vgpr16_vgpr17
                                        ; implicit-def: $vgpr28_vgpr29
                                        ; implicit-def: $vgpr40_vgpr41
                                        ; implicit-def: $vgpr44_vgpr45
                                        ; implicit-def: $vgpr48_vgpr49
                                        ; implicit-def: $vgpr52_vgpr53
	s_and_saveexec_b32 s2, vcc_lo
	s_cbranch_execz .LBB0_5
; %bb.4:
	v_lshl_add_u32 v20, v93, 4, v90
	ds_read_b128 v[0:3], v20
	ds_read_b128 v[4:7], v20 offset:576
	ds_read_b128 v[8:11], v20 offset:1152
	;; [unrolled: 1-line block ×9, first 2 shown]
.LBB0_5:
	s_or_b32 exec_lo, exec_lo, s2
	s_waitcnt lgkmcnt(2)
	v_add_f64 v[20:21], v[28:29], v[44:45]
	s_waitcnt lgkmcnt(0)
	v_add_f64 v[22:23], v[14:15], v[54:55]
	v_add_f64 v[24:25], v[12:13], v[52:53]
	;; [unrolled: 1-line block ×3, first 2 shown]
	v_add_f64 v[38:39], v[14:15], -v[54:55]
	v_add_f64 v[56:57], v[30:31], -v[46:47]
	;; [unrolled: 1-line block ×4, first 2 shown]
	s_mov_b32 s2, 0x134454ff
	s_mov_b32 s3, 0x3fee6f0e
	;; [unrolled: 1-line block ×4, first 2 shown]
	v_add_f64 v[32:33], v[16:17], v[40:41]
	v_add_f64 v[62:63], v[8:9], v[48:49]
	v_add_f64 v[72:73], v[12:13], -v[28:29]
	v_add_f64 v[74:75], v[52:53], -v[44:45]
	;; [unrolled: 1-line block ×6, first 2 shown]
	v_add_f64 v[85:86], v[18:19], v[42:43]
	v_add_f64 v[87:88], v[30:31], -v[14:15]
	v_fma_f64 v[20:21], v[20:21], -0.5, v[4:5]
	v_fma_f64 v[22:23], v[22:23], -0.5, v[6:7]
	;; [unrolled: 1-line block ×4, first 2 shown]
	v_add_f64 v[94:95], v[10:11], v[50:51]
	v_add_f64 v[96:97], v[46:47], -v[54:55]
	s_mov_b32 s10, 0x4755a5e
	s_mov_b32 s11, 0x3fe2cf23
	;; [unrolled: 1-line block ×4, first 2 shown]
	v_add_f64 v[34:35], v[10:11], -v[50:51]
	v_add_f64 v[36:37], v[18:19], -v[42:43]
	;; [unrolled: 1-line block ×4, first 2 shown]
	v_fma_f64 v[32:33], v[32:33], -0.5, v[0:1]
	v_fma_f64 v[62:63], v[62:63], -0.5, v[0:1]
	v_add_f64 v[72:73], v[72:73], v[74:75]
	v_add_f64 v[74:75], v[76:77], v[78:79]
	s_mov_b32 s16, 0x372fe950
	v_add_f64 v[78:79], v[81:82], v[83:84]
	v_fma_f64 v[76:77], v[85:86], -0.5, v[2:3]
	s_mov_b32 s17, 0x3fd3c6ef
	v_fma_f64 v[98:99], v[38:39], s[2:3], v[20:21]
	v_fma_f64 v[100:101], v[58:59], s[2:3], v[22:23]
	;; [unrolled: 1-line block ×7, first 2 shown]
	v_fma_f64 v[81:82], v[94:95], -0.5, v[2:3]
	v_add_f64 v[83:84], v[87:88], v[96:97]
	v_fma_f64 v[26:27], v[64:65], s[6:7], v[26:27]
	v_add_f64 v[60:61], v[8:9], -v[16:17]
	v_add_f64 v[66:67], v[48:49], -v[40:41]
	;; [unrolled: 1-line block ×5, first 2 shown]
	s_mov_b32 s18, 0x9b97f4a8
	s_mov_b32 s19, 0x3fe9e377
	v_mul_lo_u16 v92, v89, 10
	s_barrier
	buffer_gl0_inv
	v_fma_f64 v[85:86], v[56:57], s[10:11], v[98:99]
	v_fma_f64 v[87:88], v[64:65], s[8:9], v[100:101]
	;; [unrolled: 1-line block ×7, first 2 shown]
	v_add_f64 v[56:57], v[10:11], -v[18:19]
	v_add_f64 v[64:65], v[50:51], -v[42:43]
	;; [unrolled: 1-line block ×3, first 2 shown]
	v_fma_f64 v[100:101], v[34:35], s[2:3], v[32:33]
	v_fma_f64 v[32:33], v[34:35], s[6:7], v[32:33]
	;; [unrolled: 1-line block ×9, first 2 shown]
	v_add_f64 v[60:61], v[60:61], v[66:67]
	v_add_f64 v[68:69], v[68:69], v[70:71]
	v_fma_f64 v[58:59], v[72:73], s[16:17], v[85:86]
	v_fma_f64 v[85:86], v[83:84], s[16:17], v[87:88]
	;; [unrolled: 1-line block ×7, first 2 shown]
	v_add_f64 v[72:73], v[56:57], v[64:65]
	v_add_f64 v[83:84], v[96:97], v[98:99]
	v_fma_f64 v[56:57], v[36:37], s[10:11], v[100:101]
	v_fma_f64 v[32:33], v[36:37], s[8:9], v[32:33]
	;; [unrolled: 1-line block ×9, first 2 shown]
	v_mul_f64 v[96:97], v[58:59], s[18:19]
	v_mul_f64 v[98:99], v[85:86], s[2:3]
	;; [unrolled: 1-line block ×8, first 2 shown]
	v_fma_f64 v[56:57], v[60:61], s[16:17], v[56:57]
	v_fma_f64 v[66:67], v[60:61], s[16:17], v[32:33]
	;; [unrolled: 1-line block ×10, first 2 shown]
	v_fma_f64 v[68:69], v[22:23], s[2:3], -v[100:101]
	v_fma_f64 v[72:73], v[38:39], s[10:11], -v[102:103]
	v_fma_f64 v[76:77], v[26:27], s[18:19], v[104:105]
	v_fma_f64 v[83:84], v[85:86], s[16:17], v[106:107]
	v_fma_f64 v[85:86], v[87:88], s[6:7], -v[108:109]
	v_fma_f64 v[87:88], v[20:21], s[8:9], -v[110:111]
	s_load_dwordx2 s[2:3], s[4:5], 0x8
	v_add_f64 v[24:25], v[56:57], -v[60:61]
	v_add_f64 v[36:37], v[58:59], -v[62:63]
	;; [unrolled: 1-line block ×8, first 2 shown]
	s_and_saveexec_b32 s4, vcc_lo
	s_cbranch_execz .LBB0_7
; %bb.6:
	v_add_f64 v[2:3], v[2:3], v[10:11]
	v_add_f64 v[6:7], v[6:7], v[14:15]
	;; [unrolled: 1-line block ×24, first 2 shown]
	v_add_f64 v[18:19], v[16:17], -v[28:29]
	v_add_f64 v[30:31], v[16:17], v[28:29]
	v_add_f64 v[28:29], v[40:41], v[42:43]
	v_add_f64 v[16:17], v[40:41], -v[42:43]
	v_and_b32_e32 v40, 0xffff, v92
	v_add_lshl_u32 v40, v93, v40, 4
	ds_write_b128 v40, v[24:27] offset:96
	ds_write_b128 v40, v[36:39] offset:112
	ds_write_b128 v40, v[20:23] offset:128
	ds_write_b128 v40, v[12:15] offset:16
	ds_write_b128 v40, v[8:11] offset:32
	ds_write_b128 v40, v[4:7] offset:48
	ds_write_b128 v40, v[0:3] offset:64
	ds_write_b128 v40, v[28:31]
	ds_write_b128 v40, v[16:19] offset:80
	ds_write_b128 v40, v[32:35] offset:144
.LBB0_7:
	s_or_b32 exec_lo, exec_lo, s4
	v_and_b32_e32 v0, 0xff, v89
	s_load_dwordx4 s[4:7], s[0:1], 0x0
	s_waitcnt lgkmcnt(0)
	s_barrier
	buffer_gl0_inv
	v_mul_lo_u16 v0, 0xcd, v0
	v_add_lshl_u32 v82, v93, v89, 4
	s_mov_b32 s8, 0xe8584caa
	s_mov_b32 s9, 0x3febb67a
	;; [unrolled: 1-line block ×3, first 2 shown]
	v_lshrrev_b16 v78, 11, v0
	s_mov_b32 s0, s8
	v_lshl_add_u32 v81, v89, 4, v91
	v_mul_lo_u16 v0, v78, 10
	v_sub_nc_u16 v0, v89, v0
	v_and_b32_e32 v79, 0xff, v0
	v_mad_u64_u32 v[8:9], null, 0x50, v79, s[2:3]
	s_clause 0x4
	global_load_dwordx4 v[0:3], v[8:9], off offset:32
	global_load_dwordx4 v[16:19], v[8:9], off offset:64
	global_load_dwordx4 v[4:7], v[8:9], off
	global_load_dwordx4 v[12:15], v[8:9], off offset:16
	global_load_dwordx4 v[8:11], v[8:9], off offset:48
	ds_read_b128 v[28:31], v82 offset:2880
	ds_read_b128 v[40:43], v82 offset:4800
	;; [unrolled: 1-line block ×5, first 2 shown]
	s_waitcnt vmcnt(4) lgkmcnt(4)
	v_mul_f64 v[56:57], v[30:31], v[2:3]
	v_mul_f64 v[58:59], v[28:29], v[2:3]
	s_waitcnt vmcnt(3) lgkmcnt(3)
	v_mul_f64 v[60:61], v[40:41], v[18:19]
	v_mul_f64 v[62:63], v[42:43], v[18:19]
	;; [unrolled: 3-line block ×3, first 2 shown]
	v_fma_f64 v[56:57], v[28:29], v[0:1], -v[56:57]
	v_fma_f64 v[58:59], v[30:31], v[0:1], v[58:59]
	v_fma_f64 v[42:43], v[42:43], v[16:17], v[60:61]
	v_fma_f64 v[40:41], v[40:41], v[16:17], -v[62:63]
	s_waitcnt vmcnt(1) lgkmcnt(1)
	v_mul_f64 v[28:29], v[50:51], v[14:15]
	v_mul_f64 v[30:31], v[48:49], v[14:15]
	s_waitcnt vmcnt(0) lgkmcnt(0)
	v_mul_f64 v[60:61], v[54:55], v[10:11]
	v_mul_f64 v[62:63], v[52:53], v[10:11]
	v_fma_f64 v[44:45], v[44:45], v[4:5], -v[64:65]
	v_fma_f64 v[46:47], v[46:47], v[4:5], v[66:67]
	v_add_f64 v[64:65], v[58:59], v[42:43]
	v_add_f64 v[66:67], v[56:57], v[40:41]
	v_fma_f64 v[48:49], v[48:49], v[12:13], -v[28:29]
	v_fma_f64 v[50:51], v[50:51], v[12:13], v[30:31]
	v_fma_f64 v[52:53], v[52:53], v[8:9], -v[60:61]
	v_fma_f64 v[54:55], v[54:55], v[8:9], v[62:63]
	v_add_f64 v[60:61], v[58:59], -v[42:43]
	v_add_f64 v[62:63], v[56:57], -v[40:41]
	ds_read_b128 v[28:31], v82
	s_waitcnt lgkmcnt(0)
	s_barrier
	buffer_gl0_inv
	v_fma_f64 v[64:65], v[64:65], -0.5, v[46:47]
	v_fma_f64 v[66:67], v[66:67], -0.5, v[44:45]
	v_add_f64 v[44:45], v[44:45], v[56:57]
	v_add_f64 v[46:47], v[46:47], v[58:59]
	v_add_f64 v[68:69], v[48:49], v[52:53]
	v_add_f64 v[70:71], v[50:51], v[54:55]
	v_fma_f64 v[72:73], v[62:63], s[0:1], v[64:65]
	v_fma_f64 v[74:75], v[60:61], s[0:1], v[66:67]
	;; [unrolled: 1-line block ×4, first 2 shown]
	v_add_f64 v[64:65], v[28:29], v[48:49]
	v_add_f64 v[66:67], v[50:51], -v[54:55]
	v_add_f64 v[50:51], v[30:31], v[50:51]
	v_fma_f64 v[28:29], v[68:69], -0.5, v[28:29]
	v_add_f64 v[48:49], v[48:49], -v[52:53]
	v_fma_f64 v[30:31], v[70:71], -0.5, v[30:31]
	v_add_f64 v[40:41], v[44:45], v[40:41]
	v_add_f64 v[42:43], v[46:47], v[42:43]
	v_mul_f64 v[56:57], v[72:73], s[8:9]
	v_mul_f64 v[58:59], v[74:75], -0.5
	v_mul_f64 v[68:69], v[60:61], s[0:1]
	v_mul_f64 v[70:71], v[62:63], -0.5
	v_add_f64 v[52:53], v[64:65], v[52:53]
	v_add_f64 v[50:51], v[50:51], v[54:55]
	v_fma_f64 v[54:55], v[66:67], s[8:9], v[28:29]
	v_fma_f64 v[64:65], v[66:67], s[0:1], v[28:29]
	;; [unrolled: 1-line block ×4, first 2 shown]
	v_fma_f64 v[56:57], v[60:61], 0.5, v[56:57]
	v_fma_f64 v[58:59], v[62:63], s[8:9], v[58:59]
	v_fma_f64 v[60:61], v[72:73], 0.5, v[68:69]
	v_fma_f64 v[62:63], v[74:75], s[0:1], v[70:71]
	v_mov_b32_e32 v68, 60
	v_add_f64 v[28:29], v[52:53], v[40:41]
	v_add_f64 v[30:31], v[50:51], v[42:43]
	v_add_f64 v[40:41], v[52:53], -v[40:41]
	v_add_f64 v[42:43], v[50:51], -v[42:43]
	v_add_f64 v[44:45], v[54:55], v[56:57]
	v_add_f64 v[48:49], v[64:65], v[58:59]
	;; [unrolled: 1-line block ×4, first 2 shown]
	v_add_f64 v[52:53], v[54:55], -v[56:57]
	v_add_f64 v[54:55], v[66:67], -v[60:61]
	v_mul_u32_u24_sdwa v60, v78, v68 dst_sel:DWORD dst_unused:UNUSED_PAD src0_sel:WORD_0 src1_sel:DWORD
	v_add_f64 v[56:57], v[64:65], -v[58:59]
	v_add_f64 v[58:59], v[76:77], -v[62:63]
	v_add_nc_u32_e32 v60, v60, v79
	v_add_lshl_u32 v83, v93, v60, 4
	v_mad_u64_u32 v[60:61], null, 0x50, v89, s[2:3]
	ds_write_b128 v83, v[28:31]
	ds_write_b128 v83, v[40:43] offset:480
	ds_write_b128 v83, v[44:47] offset:160
	;; [unrolled: 1-line block ×5, first 2 shown]
	s_waitcnt lgkmcnt(0)
	s_barrier
	buffer_gl0_inv
	s_clause 0x4
	global_load_dwordx4 v[28:31], v[60:61], off offset:832
	global_load_dwordx4 v[52:55], v[60:61], off offset:864
	;; [unrolled: 1-line block ×5, first 2 shown]
	ds_read_b128 v[56:59], v82 offset:2880
	ds_read_b128 v[60:63], v82 offset:4800
	;; [unrolled: 1-line block ×5, first 2 shown]
	s_waitcnt vmcnt(4) lgkmcnt(4)
	v_mul_f64 v[76:77], v[58:59], v[30:31]
	v_mul_f64 v[78:79], v[56:57], v[30:31]
	s_waitcnt vmcnt(3) lgkmcnt(3)
	v_mul_f64 v[84:85], v[60:61], v[54:55]
	v_mul_f64 v[86:87], v[62:63], v[54:55]
	;; [unrolled: 3-line block ×3, first 2 shown]
	v_fma_f64 v[76:77], v[56:57], v[28:29], -v[76:77]
	v_fma_f64 v[78:79], v[58:59], v[28:29], v[78:79]
	v_fma_f64 v[62:63], v[62:63], v[52:53], v[84:85]
	v_fma_f64 v[60:61], v[60:61], v[52:53], -v[86:87]
	s_waitcnt vmcnt(1) lgkmcnt(1)
	v_mul_f64 v[56:57], v[70:71], v[50:51]
	v_mul_f64 v[58:59], v[68:69], v[50:51]
	s_waitcnt vmcnt(0) lgkmcnt(0)
	v_mul_f64 v[84:85], v[74:75], v[46:47]
	v_mul_f64 v[86:87], v[72:73], v[46:47]
	v_fma_f64 v[64:65], v[64:65], v[40:41], -v[93:94]
	v_fma_f64 v[66:67], v[66:67], v[40:41], v[95:96]
	v_add_f64 v[93:94], v[78:79], v[62:63]
	v_add_f64 v[95:96], v[76:77], v[60:61]
	v_fma_f64 v[68:69], v[68:69], v[48:49], -v[56:57]
	v_fma_f64 v[70:71], v[70:71], v[48:49], v[58:59]
	v_fma_f64 v[72:73], v[72:73], v[44:45], -v[84:85]
	v_fma_f64 v[74:75], v[74:75], v[44:45], v[86:87]
	v_add_f64 v[84:85], v[78:79], -v[62:63]
	v_add_f64 v[86:87], v[76:77], -v[60:61]
	ds_read_b128 v[56:59], v82
	v_fma_f64 v[93:94], v[93:94], -0.5, v[66:67]
	v_fma_f64 v[95:96], v[95:96], -0.5, v[64:65]
	v_add_f64 v[64:65], v[64:65], v[76:77]
	v_add_f64 v[66:67], v[66:67], v[78:79]
	v_add_f64 v[97:98], v[68:69], v[72:73]
	v_add_f64 v[99:100], v[70:71], v[74:75]
	v_fma_f64 v[101:102], v[86:87], s[0:1], v[93:94]
	v_fma_f64 v[103:104], v[84:85], s[0:1], v[95:96]
	;; [unrolled: 1-line block ×4, first 2 shown]
	s_waitcnt lgkmcnt(0)
	v_add_f64 v[93:94], v[56:57], v[68:69]
	v_add_f64 v[95:96], v[70:71], -v[74:75]
	v_add_f64 v[70:71], v[58:59], v[70:71]
	v_fma_f64 v[56:57], v[97:98], -0.5, v[56:57]
	v_add_f64 v[68:69], v[68:69], -v[72:73]
	v_fma_f64 v[58:59], v[99:100], -0.5, v[58:59]
	v_add_f64 v[60:61], v[64:65], v[60:61]
	v_add_f64 v[62:63], v[66:67], v[62:63]
	v_mul_f64 v[76:77], v[101:102], s[8:9]
	v_mul_f64 v[78:79], v[103:104], -0.5
	v_mul_f64 v[97:98], v[84:85], s[0:1]
	v_mul_f64 v[99:100], v[86:87], -0.5
	v_add_f64 v[72:73], v[93:94], v[72:73]
	v_add_f64 v[70:71], v[70:71], v[74:75]
	v_fma_f64 v[93:94], v[95:96], s[8:9], v[56:57]
	v_fma_f64 v[95:96], v[95:96], s[0:1], v[56:57]
	;; [unrolled: 1-line block ×4, first 2 shown]
	v_fma_f64 v[68:69], v[84:85], 0.5, v[76:77]
	v_fma_f64 v[76:77], v[86:87], s[8:9], v[78:79]
	v_fma_f64 v[78:79], v[101:102], 0.5, v[97:98]
	v_fma_f64 v[84:85], v[103:104], s[0:1], v[99:100]
	v_add_f64 v[56:57], v[72:73], v[60:61]
	v_add_f64 v[64:65], v[72:73], -v[60:61]
	v_add_f64 v[58:59], v[70:71], v[62:63]
	v_add_f64 v[66:67], v[70:71], -v[62:63]
	v_add_f64 v[60:61], v[93:94], v[68:69]
	v_add_f64 v[72:73], v[95:96], v[76:77]
	;; [unrolled: 1-line block ×4, first 2 shown]
	v_add_f64 v[68:69], v[93:94], -v[68:69]
	v_add_f64 v[76:77], v[95:96], -v[76:77]
	;; [unrolled: 1-line block ×4, first 2 shown]
	ds_write_b128 v81, v[56:59]
	ds_write_b128 v81, v[64:67] offset:2880
	ds_write_b128 v81, v[60:63] offset:960
	;; [unrolled: 1-line block ×5, first 2 shown]
	s_waitcnt lgkmcnt(0)
	s_barrier
	buffer_gl0_inv
	s_and_saveexec_b32 s1, vcc_lo
	s_cbranch_execz .LBB0_9
; %bb.8:
	v_add_co_u32 v88, s0, s14, v90
	v_add_co_ci_u32_e64 v113, null, s15, 0, s0
	v_add_co_u32 v84, s0, 0x1000, v88
	v_add_co_ci_u32_e64 v85, s0, 0, v113, s0
	v_add_co_u32 v101, s0, 0x1680, v88
	v_add_co_ci_u32_e64 v102, s0, 0, v113, s0
	v_add_co_u32 v105, s0, 0x1800, v88
	global_load_dwordx4 v[84:87], v[84:85], off offset:1664
	v_add_co_ci_u32_e64 v106, s0, 0, v113, s0
	v_add_co_u32 v117, s0, 0x2000, v88
	v_add_co_ci_u32_e64 v118, s0, 0, v113, s0
	v_add_co_u32 v125, s0, 0x2800, v88
	s_clause 0x4
	global_load_dwordx4 v[93:96], v[101:102], off offset:576
	global_load_dwordx4 v[97:100], v[101:102], off offset:1152
	;; [unrolled: 1-line block ×5, first 2 shown]
	v_add_co_ci_u32_e64 v126, s0, 0, v113, s0
	s_clause 0x3
	global_load_dwordx4 v[113:116], v[117:118], off offset:1024
	global_load_dwordx4 v[117:120], v[117:118], off offset:1600
	global_load_dwordx4 v[121:124], v[125:126], off offset:128
	global_load_dwordx4 v[125:128], v[125:126], off offset:704
	ds_read_b128 v[129:132], v81
	ds_read_b128 v[133:136], v81 offset:576
	ds_read_b128 v[137:140], v81 offset:1152
	;; [unrolled: 1-line block ×9, first 2 shown]
	s_waitcnt vmcnt(9) lgkmcnt(9)
	v_mul_f64 v[169:170], v[131:132], v[86:87]
	v_mul_f64 v[86:87], v[129:130], v[86:87]
	s_waitcnt vmcnt(8) lgkmcnt(8)
	v_mul_f64 v[171:172], v[135:136], v[95:96]
	v_mul_f64 v[95:96], v[133:134], v[95:96]
	s_waitcnt vmcnt(7) lgkmcnt(7)
	v_mul_f64 v[173:174], v[139:140], v[99:100]
	v_mul_f64 v[99:100], v[137:138], v[99:100]
	s_waitcnt vmcnt(6) lgkmcnt(6)
	v_mul_f64 v[175:176], v[143:144], v[103:104]
	v_mul_f64 v[103:104], v[141:142], v[103:104]
	s_waitcnt vmcnt(5) lgkmcnt(5)
	v_mul_f64 v[177:178], v[147:148], v[107:108]
	v_mul_f64 v[107:108], v[145:146], v[107:108]
	s_waitcnt vmcnt(4) lgkmcnt(4)
	v_mul_f64 v[179:180], v[151:152], v[111:112]
	v_mul_f64 v[111:112], v[149:150], v[111:112]
	s_waitcnt vmcnt(3) lgkmcnt(3)
	v_mul_f64 v[181:182], v[155:156], v[115:116]
	v_mul_f64 v[115:116], v[153:154], v[115:116]
	s_waitcnt vmcnt(2) lgkmcnt(2)
	v_mul_f64 v[183:184], v[159:160], v[119:120]
	v_mul_f64 v[119:120], v[157:158], v[119:120]
	s_waitcnt vmcnt(1) lgkmcnt(1)
	v_mul_f64 v[185:186], v[163:164], v[123:124]
	v_mul_f64 v[123:124], v[161:162], v[123:124]
	s_waitcnt vmcnt(0) lgkmcnt(0)
	v_mul_f64 v[187:188], v[167:168], v[127:128]
	v_mul_f64 v[189:190], v[165:166], v[127:128]
	v_fma_f64 v[127:128], v[129:130], v[84:85], -v[169:170]
	v_fma_f64 v[129:130], v[131:132], v[84:85], v[86:87]
	v_fma_f64 v[84:85], v[133:134], v[93:94], -v[171:172]
	v_fma_f64 v[86:87], v[135:136], v[93:94], v[95:96]
	;; [unrolled: 2-line block ×10, first 2 shown]
	ds_write_b128 v81, v[127:130]
	ds_write_b128 v81, v[84:87] offset:576
	ds_write_b128 v81, v[93:96] offset:1152
	ds_write_b128 v81, v[97:100] offset:1728
	ds_write_b128 v81, v[101:104] offset:2304
	ds_write_b128 v81, v[105:108] offset:2880
	ds_write_b128 v81, v[109:112] offset:3456
	ds_write_b128 v81, v[113:116] offset:4032
	ds_write_b128 v81, v[117:120] offset:4608
	ds_write_b128 v81, v[121:124] offset:5184
.LBB0_9:
	s_or_b32 exec_lo, exec_lo, s1
	s_waitcnt lgkmcnt(0)
	s_barrier
	buffer_gl0_inv
	s_and_saveexec_b32 s0, vcc_lo
	s_cbranch_execz .LBB0_11
; %bb.10:
	ds_read_b128 v[56:59], v81
	ds_read_b128 v[60:63], v81 offset:576
	ds_read_b128 v[72:75], v81 offset:1152
	;; [unrolled: 1-line block ×9, first 2 shown]
.LBB0_11:
	s_or_b32 exec_lo, exec_lo, s0
	s_waitcnt lgkmcnt(0)
	s_barrier
	buffer_gl0_inv
	s_and_saveexec_b32 s22, vcc_lo
	s_cbranch_execz .LBB0_13
; %bb.12:
	v_add_f64 v[84:85], v[78:79], v[38:39]
	v_add_f64 v[86:87], v[66:67], v[34:35]
	;; [unrolled: 1-line block ×3, first 2 shown]
	v_add_f64 v[109:110], v[66:67], -v[34:35]
	v_add_f64 v[113:114], v[64:65], -v[32:33]
	v_add_f64 v[115:116], v[64:65], v[32:33]
	v_add_f64 v[117:118], v[76:77], -v[36:37]
	s_mov_b32 s10, 0x134454ff
	s_mov_b32 s11, 0xbfee6f0e
	;; [unrolled: 1-line block ×4, first 2 shown]
	v_add_f64 v[99:100], v[70:71], v[26:27]
	v_add_f64 v[105:106], v[64:65], -v[76:77]
	v_add_f64 v[107:108], v[32:33], -v[36:37]
	;; [unrolled: 1-line block ×5, first 2 shown]
	v_add_f64 v[127:128], v[74:75], v[22:23]
	v_add_f64 v[133:134], v[78:79], -v[66:67]
	v_add_f64 v[135:136], v[38:39], -v[34:35]
	v_add_f64 v[147:148], v[68:69], v[24:25]
	v_add_f64 v[149:150], v[72:73], v[20:21]
	v_fma_f64 v[84:85], v[84:85], -0.5, v[62:63]
	v_fma_f64 v[86:87], v[86:87], -0.5, v[62:63]
	;; [unrolled: 1-line block ×3, first 2 shown]
	s_mov_b32 s16, 0x4755a5e
	v_add_f64 v[101:102], v[72:73], -v[20:21]
	v_fma_f64 v[115:116], v[115:116], -0.5, v[60:61]
	s_mov_b32 s17, 0xbfe2cf23
	s_mov_b32 s19, 0x3fe2cf23
	v_add_f64 v[137:138], v[58:59], v[74:75]
	v_add_f64 v[62:63], v[62:63], v[66:67]
	v_add_f64 v[66:67], v[72:73], -v[68:69]
	v_add_f64 v[153:154], v[68:69], -v[72:73]
	v_add_f64 v[72:73], v[56:57], v[72:73]
	v_add_f64 v[60:61], v[60:61], v[64:65]
	s_mov_b32 s18, s16
	v_add_f64 v[93:94], v[74:75], -v[70:71]
	v_add_f64 v[103:104], v[68:69], -v[24:25]
	;; [unrolled: 1-line block ×7, first 2 shown]
	v_fma_f64 v[141:142], v[113:114], s[10:11], v[84:85]
	v_fma_f64 v[143:144], v[117:118], s[2:3], v[86:87]
	;; [unrolled: 1-line block ×5, first 2 shown]
	v_fma_f64 v[64:65], v[99:100], -0.5, v[58:59]
	v_add_f64 v[99:100], v[105:106], v[107:108]
	v_fma_f64 v[58:59], v[127:128], -0.5, v[58:59]
	v_add_f64 v[105:106], v[119:120], v[121:122]
	v_add_f64 v[107:108], v[133:134], v[135:136]
	v_fma_f64 v[95:96], v[109:110], s[2:3], v[95:96]
	v_fma_f64 v[119:120], v[111:112], s[10:11], v[115:116]
	;; [unrolled: 1-line block ×3, first 2 shown]
	v_fma_f64 v[133:134], v[147:148], -0.5, v[56:57]
	v_fma_f64 v[56:57], v[149:150], -0.5, v[56:57]
	s_mov_b32 s0, 0x372fe950
	s_mov_b32 s1, 0x3fd3c6ef
	v_add_f64 v[70:71], v[137:138], v[70:71]
	v_add_f64 v[62:63], v[62:63], v[78:79]
	;; [unrolled: 1-line block ×4, first 2 shown]
	v_add_f64 v[97:98], v[22:23], -v[26:27]
	v_fma_f64 v[121:122], v[117:118], s[16:17], v[141:142]
	v_fma_f64 v[127:128], v[113:114], s[16:17], v[143:144]
	;; [unrolled: 1-line block ×5, first 2 shown]
	v_add_f64 v[125:126], v[26:27], -v[22:23]
	v_add_f64 v[139:140], v[20:21], -v[24:25]
	;; [unrolled: 1-line block ×3, first 2 shown]
	v_add_f64 v[117:118], v[129:130], v[131:132]
	v_fma_f64 v[72:73], v[101:102], s[10:11], v[64:65]
	v_fma_f64 v[76:77], v[103:104], s[2:3], v[58:59]
	;; [unrolled: 1-line block ×9, first 2 shown]
	s_mov_b32 s8, 0x9b97f4a8
	s_mov_b32 s9, 0xbfe9e377
	;; [unrolled: 1-line block ×4, first 2 shown]
	v_fma_f64 v[111:112], v[105:106], s[0:1], v[121:122]
	v_fma_f64 v[115:116], v[107:108], s[0:1], v[127:128]
	;; [unrolled: 1-line block ×7, first 2 shown]
	v_add_f64 v[26:27], v[70:71], v[26:27]
	v_add_f64 v[38:39], v[62:63], v[38:39]
	;; [unrolled: 1-line block ×8, first 2 shown]
	v_fma_f64 v[60:61], v[103:104], s[16:17], v[72:73]
	v_fma_f64 v[62:63], v[101:102], s[16:17], v[76:77]
	;; [unrolled: 1-line block ×7, first 2 shown]
	v_mul_f64 v[76:77], v[111:112], s[8:9]
	v_mul_f64 v[78:79], v[115:116], s[20:21]
	;; [unrolled: 1-line block ×4, first 2 shown]
	v_fma_f64 v[101:102], v[151:152], s[18:19], v[113:114]
	v_fma_f64 v[103:104], v[74:75], s[18:19], v[119:120]
	;; [unrolled: 1-line block ×4, first 2 shown]
	v_mul_f64 v[109:110], v[84:85], s[16:17]
	v_mul_f64 v[86:87], v[86:87], s[10:11]
	;; [unrolled: 1-line block ×4, first 2 shown]
	s_mov_b32 s11, 0x3fe9e377
	s_mov_b32 s10, s8
	v_add_f64 v[26:27], v[26:27], v[22:23]
	v_add_f64 v[34:35], v[38:39], v[34:35]
	;; [unrolled: 1-line block ×4, first 2 shown]
	v_fma_f64 v[36:37], v[93:94], s[0:1], v[60:61]
	v_fma_f64 v[60:61], v[97:98], s[0:1], v[62:63]
	;; [unrolled: 1-line block ×16, first 2 shown]
	v_add_f64 v[22:23], v[26:27], -v[34:35]
	v_add_f64 v[26:27], v[26:27], v[34:35]
	v_add_f64 v[20:21], v[24:25], -v[32:33]
	v_add_f64 v[24:25], v[24:25], v[32:33]
	v_add_f64 v[34:35], v[36:37], -v[76:77]
	v_add_f64 v[38:39], v[60:61], -v[78:79]
	v_add_f64 v[66:67], v[36:37], v[76:77]
	v_add_f64 v[70:71], v[60:61], v[78:79]
	;; [unrolled: 1-line block ×4, first 2 shown]
	v_add_f64 v[62:63], v[64:65], -v[84:85]
	v_add_f64 v[58:59], v[97:98], -v[93:94]
	v_add_f64 v[76:77], v[101:102], v[103:104]
	v_add_f64 v[72:73], v[56:57], v[86:87]
	;; [unrolled: 1-line block ×4, first 2 shown]
	v_add_f64 v[60:61], v[101:102], -v[103:104]
	v_add_f64 v[56:57], v[56:57], -v[86:87]
	;; [unrolled: 1-line block ×4, first 2 shown]
	v_and_b32_e32 v84, 0xffff, v92
	v_lshl_add_u32 v84, v84, 4, v91
	ds_write_b128 v84, v[24:27]
	ds_write_b128 v84, v[20:23] offset:80
	ds_write_b128 v84, v[76:79] offset:16
	;; [unrolled: 1-line block ×9, first 2 shown]
.LBB0_13:
	s_or_b32 exec_lo, exec_lo, s22
	s_waitcnt lgkmcnt(0)
	s_barrier
	buffer_gl0_inv
	ds_read_b128 v[20:23], v82 offset:2880
	ds_read_b128 v[24:27], v82 offset:4800
	;; [unrolled: 1-line block ×5, first 2 shown]
	s_mov_b32 s2, 0xe8584caa
	s_mov_b32 s3, 0xbfebb67a
	;; [unrolled: 1-line block ×4, first 2 shown]
	s_waitcnt lgkmcnt(4)
	v_mul_f64 v[60:61], v[2:3], v[20:21]
	s_waitcnt lgkmcnt(3)
	v_mul_f64 v[62:63], v[18:19], v[24:25]
	;; [unrolled: 2-line block ×3, first 2 shown]
	v_mul_f64 v[2:3], v[2:3], v[22:23]
	v_mul_f64 v[18:19], v[18:19], v[26:27]
	;; [unrolled: 1-line block ×3, first 2 shown]
	v_fma_f64 v[22:23], v[0:1], v[22:23], -v[60:61]
	v_fma_f64 v[26:27], v[16:17], v[26:27], -v[62:63]
	s_waitcnt lgkmcnt(1)
	v_mul_f64 v[60:61], v[14:15], v[38:39]
	v_mul_f64 v[14:15], v[14:15], v[36:37]
	s_waitcnt lgkmcnt(0)
	v_mul_f64 v[62:63], v[10:11], v[58:59]
	v_mul_f64 v[10:11], v[10:11], v[56:57]
	v_fma_f64 v[20:21], v[0:1], v[20:21], v[2:3]
	v_fma_f64 v[16:17], v[16:17], v[24:25], v[18:19]
	v_fma_f64 v[18:19], v[4:5], v[34:35], -v[64:65]
	v_fma_f64 v[4:5], v[4:5], v[32:33], v[6:7]
	v_add_f64 v[0:1], v[22:23], v[26:27]
	v_fma_f64 v[24:25], v[12:13], v[36:37], v[60:61]
	v_fma_f64 v[12:13], v[12:13], v[38:39], -v[14:15]
	v_fma_f64 v[14:15], v[8:9], v[56:57], v[62:63]
	v_fma_f64 v[8:9], v[8:9], v[58:59], -v[10:11]
	v_add_f64 v[38:39], v[22:23], -v[26:27]
	v_add_f64 v[6:7], v[20:21], v[16:17]
	v_add_f64 v[10:11], v[20:21], -v[16:17]
	v_fma_f64 v[32:33], v[0:1], -0.5, v[18:19]
	ds_read_b128 v[0:3], v82
	v_add_f64 v[18:19], v[18:19], v[22:23]
	v_add_f64 v[34:35], v[24:25], v[14:15]
	;; [unrolled: 1-line block ×3, first 2 shown]
	v_add_f64 v[58:59], v[12:13], -v[8:9]
	v_fma_f64 v[6:7], v[6:7], -0.5, v[4:5]
	v_add_f64 v[4:5], v[4:5], v[20:21]
	s_waitcnt lgkmcnt(0)
	s_barrier
	buffer_gl0_inv
	v_add_f64 v[12:13], v[2:3], v[12:13]
	v_fma_f64 v[56:57], v[10:11], s[0:1], v[32:33]
	v_fma_f64 v[10:11], v[10:11], s[2:3], v[32:33]
	v_add_f64 v[32:33], v[0:1], v[24:25]
	v_add_f64 v[24:25], v[24:25], -v[14:15]
	v_fma_f64 v[0:1], v[34:35], -0.5, v[0:1]
	v_fma_f64 v[2:3], v[36:37], -0.5, v[2:3]
	v_fma_f64 v[20:21], v[38:39], s[2:3], v[6:7]
	v_fma_f64 v[6:7], v[38:39], s[0:1], v[6:7]
	v_add_f64 v[4:5], v[4:5], v[16:17]
	v_add_f64 v[8:9], v[12:13], v[8:9]
	v_mul_f64 v[22:23], v[56:57], s[2:3]
	v_mul_f64 v[34:35], v[10:11], s[2:3]
	v_mul_f64 v[36:37], v[56:57], 0.5
	v_mul_f64 v[10:11], v[10:11], -0.5
	v_add_f64 v[14:15], v[32:33], v[14:15]
	v_add_f64 v[12:13], v[18:19], v[26:27]
	v_fma_f64 v[16:17], v[58:59], s[2:3], v[0:1]
	v_fma_f64 v[26:27], v[24:25], s[0:1], v[2:3]
	;; [unrolled: 1-line block ×4, first 2 shown]
	v_fma_f64 v[22:23], v[20:21], 0.5, v[22:23]
	v_fma_f64 v[32:33], v[6:7], -0.5, v[34:35]
	v_fma_f64 v[34:35], v[20:21], s[0:1], v[36:37]
	v_fma_f64 v[36:37], v[6:7], s[0:1], v[10:11]
	v_add_f64 v[0:1], v[14:15], v[4:5]
	v_add_f64 v[2:3], v[8:9], v[12:13]
	v_add_f64 v[4:5], v[14:15], -v[4:5]
	v_add_f64 v[6:7], v[8:9], -v[12:13]
	v_add_f64 v[8:9], v[16:17], v[22:23]
	v_add_f64 v[12:13], v[18:19], v[32:33]
	;; [unrolled: 1-line block ×4, first 2 shown]
	v_add_f64 v[16:17], v[16:17], -v[22:23]
	v_add_f64 v[20:21], v[18:19], -v[32:33]
	;; [unrolled: 1-line block ×4, first 2 shown]
	ds_write_b128 v83, v[0:3]
	ds_write_b128 v83, v[4:7] offset:480
	ds_write_b128 v83, v[8:11] offset:160
	;; [unrolled: 1-line block ×5, first 2 shown]
	s_waitcnt lgkmcnt(0)
	s_barrier
	buffer_gl0_inv
	ds_read_b128 v[0:3], v82 offset:2880
	ds_read_b128 v[4:7], v82 offset:4800
	;; [unrolled: 1-line block ×5, first 2 shown]
	s_waitcnt lgkmcnt(4)
	v_mul_f64 v[20:21], v[30:31], v[0:1]
	s_waitcnt lgkmcnt(3)
	v_mul_f64 v[22:23], v[54:55], v[4:5]
	;; [unrolled: 2-line block ×3, first 2 shown]
	v_mul_f64 v[26:27], v[30:31], v[2:3]
	v_mul_f64 v[30:31], v[54:55], v[6:7]
	s_waitcnt lgkmcnt(1)
	v_mul_f64 v[32:33], v[50:51], v[12:13]
	s_waitcnt lgkmcnt(0)
	v_mul_f64 v[34:35], v[46:47], v[18:19]
	v_mul_f64 v[36:37], v[46:47], v[16:17]
	v_fma_f64 v[20:21], v[28:29], v[2:3], -v[20:21]
	v_fma_f64 v[6:7], v[52:53], v[6:7], -v[22:23]
	v_mul_f64 v[2:3], v[42:43], v[10:11]
	v_mul_f64 v[22:23], v[50:51], v[14:15]
	v_fma_f64 v[26:27], v[28:29], v[0:1], v[26:27]
	v_fma_f64 v[4:5], v[52:53], v[4:5], v[30:31]
	v_fma_f64 v[10:11], v[40:41], v[10:11], -v[24:25]
	v_fma_f64 v[14:15], v[48:49], v[14:15], -v[32:33]
	v_fma_f64 v[16:17], v[44:45], v[16:17], v[34:35]
	v_fma_f64 v[18:19], v[44:45], v[18:19], -v[36:37]
	v_add_f64 v[0:1], v[20:21], v[6:7]
	v_fma_f64 v[8:9], v[40:41], v[8:9], v[2:3]
	v_fma_f64 v[12:13], v[48:49], v[12:13], v[22:23]
	v_add_f64 v[34:35], v[20:21], -v[6:7]
	v_add_f64 v[22:23], v[26:27], v[4:5]
	v_add_f64 v[24:25], v[26:27], -v[4:5]
	v_add_f64 v[32:33], v[14:15], v[18:19]
	v_add_f64 v[38:39], v[14:15], -v[18:19]
	v_fma_f64 v[28:29], v[0:1], -0.5, v[10:11]
	ds_read_b128 v[0:3], v82
	v_add_f64 v[30:31], v[12:13], v[16:17]
	v_add_f64 v[10:11], v[10:11], v[20:21]
	v_fma_f64 v[22:23], v[22:23], -0.5, v[8:9]
	v_add_f64 v[8:9], v[8:9], v[26:27]
	s_waitcnt lgkmcnt(0)
	v_add_f64 v[14:15], v[2:3], v[14:15]
	v_fma_f64 v[36:37], v[24:25], s[0:1], v[28:29]
	v_fma_f64 v[24:25], v[24:25], s[2:3], v[28:29]
	v_add_f64 v[28:29], v[0:1], v[12:13]
	v_add_f64 v[12:13], v[12:13], -v[16:17]
	v_fma_f64 v[0:1], v[30:31], -0.5, v[0:1]
	v_fma_f64 v[2:3], v[32:33], -0.5, v[2:3]
	v_fma_f64 v[20:21], v[34:35], s[2:3], v[22:23]
	v_fma_f64 v[22:23], v[34:35], s[0:1], v[22:23]
	v_add_f64 v[4:5], v[8:9], v[4:5]
	v_add_f64 v[6:7], v[10:11], v[6:7]
	;; [unrolled: 1-line block ×3, first 2 shown]
	v_mul_f64 v[26:27], v[36:37], s[2:3]
	v_mul_f64 v[32:33], v[36:37], 0.5
	v_mul_f64 v[30:31], v[24:25], s[2:3]
	v_mul_f64 v[24:25], v[24:25], -0.5
	v_add_f64 v[16:17], v[28:29], v[16:17]
	v_fma_f64 v[18:19], v[38:39], s[2:3], v[0:1]
	v_fma_f64 v[34:35], v[12:13], s[0:1], v[2:3]
	;; [unrolled: 1-line block ×4, first 2 shown]
	v_add_f64 v[2:3], v[14:15], v[6:7]
	v_fma_f64 v[26:27], v[20:21], 0.5, v[26:27]
	v_fma_f64 v[32:33], v[20:21], s[0:1], v[32:33]
	v_fma_f64 v[30:31], v[22:23], -0.5, v[30:31]
	v_fma_f64 v[22:23], v[22:23], s[0:1], v[24:25]
	v_add_f64 v[0:1], v[16:17], v[4:5]
	v_add_f64 v[4:5], v[16:17], -v[4:5]
	v_add_f64 v[6:7], v[14:15], -v[6:7]
	v_add_f64 v[8:9], v[18:19], v[26:27]
	v_add_f64 v[10:11], v[34:35], v[32:33]
	;; [unrolled: 1-line block ×4, first 2 shown]
	v_add_f64 v[16:17], v[18:19], -v[26:27]
	v_add_f64 v[18:19], v[34:35], -v[32:33]
	;; [unrolled: 1-line block ×4, first 2 shown]
	ds_write_b128 v81, v[0:3]
	ds_write_b128 v81, v[4:7] offset:2880
	ds_write_b128 v81, v[8:11] offset:960
	;; [unrolled: 1-line block ×5, first 2 shown]
	s_waitcnt lgkmcnt(0)
	s_barrier
	buffer_gl0_inv
	s_and_b32 exec_lo, exec_lo, vcc_lo
	s_cbranch_execz .LBB0_15
; %bb.14:
	v_add_co_u32 v24, s0, s14, v90
	v_add_co_ci_u32_e64 v25, null, s15, 0, s0
	global_load_dwordx4 v[0:3], v90, s[14:15]
	v_add_co_u32 v28, vcc_lo, 0x800, v24
	v_add_co_ci_u32_e32 v29, vcc_lo, 0, v25, vcc_lo
	v_add_co_u32 v36, vcc_lo, 0x1000, v24
	s_clause 0x4
	global_load_dwordx4 v[4:7], v90, s[14:15] offset:576
	global_load_dwordx4 v[8:11], v90, s[14:15] offset:1152
	;; [unrolled: 1-line block ×3, first 2 shown]
	global_load_dwordx4 v[16:19], v[28:29], off offset:256
	global_load_dwordx4 v[20:23], v[28:29], off offset:832
	v_add_co_ci_u32_e32 v37, vcc_lo, 0, v25, vcc_lo
	s_clause 0x3
	global_load_dwordx4 v[24:27], v[28:29], off offset:1408
	global_load_dwordx4 v[28:31], v[28:29], off offset:1984
	;; [unrolled: 1-line block ×4, first 2 shown]
	v_mad_u64_u32 v[48:49], null, s6, v80, 0
	v_mad_u64_u32 v[50:51], null, s4, v89, 0
	s_mul_i32 s2, s5, 0x240
	s_mul_hi_u32 s3, s4, 0x240
	s_mulk_i32 s4, 0x240
	s_add_i32 s3, s3, s2
	v_mov_b32_e32 v40, v49
	s_mov_b32 s0, 0x16c16c17
	v_mov_b32_e32 v41, v51
	s_mov_b32 s1, 0x3f66c16c
	v_mad_u64_u32 v[42:43], null, s7, v80, v[40:41]
	v_mov_b32_e32 v49, v42
	v_mad_u64_u32 v[51:52], null, s5, v89, v[41:42]
	ds_read_b128 v[40:43], v81
	ds_read_b128 v[44:47], v81 offset:576
	v_lshlrev_b64 v[48:49], 4, v[48:49]
	v_lshlrev_b64 v[56:57], 4, v[50:51]
	v_add_co_u32 v58, vcc_lo, s12, v48
	v_add_co_ci_u32_e32 v59, vcc_lo, s13, v49, vcc_lo
	ds_read_b128 v[48:51], v81 offset:1152
	ds_read_b128 v[52:55], v81 offset:1728
	v_add_co_u32 v82, vcc_lo, v58, v56
	v_add_co_ci_u32_e32 v83, vcc_lo, v59, v57, vcc_lo
	ds_read_b128 v[56:59], v81 offset:2304
	ds_read_b128 v[60:63], v81 offset:2880
	;; [unrolled: 1-line block ×6, first 2 shown]
	v_add_co_u32 v84, vcc_lo, v82, s4
	v_add_co_ci_u32_e32 v85, vcc_lo, s3, v83, vcc_lo
	v_add_co_u32 v86, vcc_lo, v84, s4
	v_add_co_ci_u32_e32 v87, vcc_lo, s3, v85, vcc_lo
	;; [unrolled: 2-line block ×5, first 2 shown]
	s_waitcnt vmcnt(9) lgkmcnt(9)
	v_mul_f64 v[90:91], v[42:43], v[2:3]
	v_mul_f64 v[2:3], v[40:41], v[2:3]
	s_waitcnt vmcnt(8) lgkmcnt(8)
	v_mul_f64 v[92:93], v[46:47], v[6:7]
	v_mul_f64 v[6:7], v[44:45], v[6:7]
	;; [unrolled: 3-line block ×10, first 2 shown]
	v_fma_f64 v[40:41], v[40:41], v[0:1], v[90:91]
	v_fma_f64 v[2:3], v[0:1], v[42:43], -v[2:3]
	v_fma_f64 v[42:43], v[44:45], v[4:5], v[92:93]
	v_fma_f64 v[6:7], v[4:5], v[46:47], -v[6:7]
	v_fma_f64 v[44:45], v[48:49], v[8:9], v[94:95]
	v_fma_f64 v[10:11], v[8:9], v[50:51], -v[10:11]
	v_fma_f64 v[46:47], v[52:53], v[12:13], v[96:97]
	v_fma_f64 v[14:15], v[12:13], v[54:55], -v[14:15]
	v_fma_f64 v[48:49], v[56:57], v[16:17], v[98:99]
	v_fma_f64 v[18:19], v[16:17], v[58:59], -v[18:19]
	v_fma_f64 v[50:51], v[60:61], v[20:21], v[100:101]
	v_fma_f64 v[22:23], v[20:21], v[62:63], -v[22:23]
	v_fma_f64 v[52:53], v[64:65], v[24:25], v[102:103]
	v_fma_f64 v[26:27], v[24:25], v[66:67], -v[26:27]
	v_fma_f64 v[54:55], v[68:69], v[28:29], v[104:105]
	v_fma_f64 v[30:31], v[28:29], v[70:71], -v[30:31]
	v_fma_f64 v[56:57], v[72:73], v[32:33], v[106:107]
	v_fma_f64 v[34:35], v[32:33], v[74:75], -v[34:35]
	v_fma_f64 v[58:59], v[76:77], v[36:37], v[108:109]
	v_fma_f64 v[38:39], v[36:37], v[78:79], -v[38:39]
	v_add_co_u32 v60, vcc_lo, v110, s4
	v_mul_f64 v[0:1], v[40:41], s[0:1]
	v_mul_f64 v[2:3], v[2:3], s[0:1]
	v_mul_f64 v[4:5], v[42:43], s[0:1]
	v_mul_f64 v[6:7], v[6:7], s[0:1]
	v_mul_f64 v[8:9], v[44:45], s[0:1]
	v_mul_f64 v[10:11], v[10:11], s[0:1]
	v_mul_f64 v[12:13], v[46:47], s[0:1]
	v_mul_f64 v[14:15], v[14:15], s[0:1]
	v_mul_f64 v[16:17], v[48:49], s[0:1]
	v_mul_f64 v[18:19], v[18:19], s[0:1]
	v_mul_f64 v[20:21], v[50:51], s[0:1]
	v_mul_f64 v[22:23], v[22:23], s[0:1]
	v_mul_f64 v[24:25], v[52:53], s[0:1]
	v_mul_f64 v[26:27], v[26:27], s[0:1]
	v_add_co_ci_u32_e32 v61, vcc_lo, s3, v111, vcc_lo
	v_mul_f64 v[28:29], v[54:55], s[0:1]
	v_mul_f64 v[30:31], v[30:31], s[0:1]
	;; [unrolled: 1-line block ×6, first 2 shown]
	v_add_co_u32 v40, vcc_lo, v60, s4
	v_add_co_ci_u32_e32 v41, vcc_lo, s3, v61, vcc_lo
	v_add_co_u32 v42, vcc_lo, v40, s4
	v_add_co_ci_u32_e32 v43, vcc_lo, s3, v41, vcc_lo
	;; [unrolled: 2-line block ×3, first 2 shown]
	global_store_dwordx4 v[82:83], v[0:3], off
	global_store_dwordx4 v[84:85], v[4:7], off
	;; [unrolled: 1-line block ×10, first 2 shown]
.LBB0_15:
	s_endpgm
	.section	.rodata,"a",@progbits
	.p2align	6, 0x0
	.amdhsa_kernel bluestein_single_fwd_len360_dim1_dp_op_CI_CI
		.amdhsa_group_segment_fixed_size 23040
		.amdhsa_private_segment_fixed_size 0
		.amdhsa_kernarg_size 104
		.amdhsa_user_sgpr_count 6
		.amdhsa_user_sgpr_private_segment_buffer 1
		.amdhsa_user_sgpr_dispatch_ptr 0
		.amdhsa_user_sgpr_queue_ptr 0
		.amdhsa_user_sgpr_kernarg_segment_ptr 1
		.amdhsa_user_sgpr_dispatch_id 0
		.amdhsa_user_sgpr_flat_scratch_init 0
		.amdhsa_user_sgpr_private_segment_size 0
		.amdhsa_wavefront_size32 1
		.amdhsa_uses_dynamic_stack 0
		.amdhsa_system_sgpr_private_segment_wavefront_offset 0
		.amdhsa_system_sgpr_workgroup_id_x 1
		.amdhsa_system_sgpr_workgroup_id_y 0
		.amdhsa_system_sgpr_workgroup_id_z 0
		.amdhsa_system_sgpr_workgroup_info 0
		.amdhsa_system_vgpr_workitem_id 0
		.amdhsa_next_free_vgpr 191
		.amdhsa_next_free_sgpr 23
		.amdhsa_reserve_vcc 1
		.amdhsa_reserve_flat_scratch 0
		.amdhsa_float_round_mode_32 0
		.amdhsa_float_round_mode_16_64 0
		.amdhsa_float_denorm_mode_32 3
		.amdhsa_float_denorm_mode_16_64 3
		.amdhsa_dx10_clamp 1
		.amdhsa_ieee_mode 1
		.amdhsa_fp16_overflow 0
		.amdhsa_workgroup_processor_mode 1
		.amdhsa_memory_ordered 1
		.amdhsa_forward_progress 0
		.amdhsa_shared_vgpr_count 0
		.amdhsa_exception_fp_ieee_invalid_op 0
		.amdhsa_exception_fp_denorm_src 0
		.amdhsa_exception_fp_ieee_div_zero 0
		.amdhsa_exception_fp_ieee_overflow 0
		.amdhsa_exception_fp_ieee_underflow 0
		.amdhsa_exception_fp_ieee_inexact 0
		.amdhsa_exception_int_div_zero 0
	.end_amdhsa_kernel
	.text
.Lfunc_end0:
	.size	bluestein_single_fwd_len360_dim1_dp_op_CI_CI, .Lfunc_end0-bluestein_single_fwd_len360_dim1_dp_op_CI_CI
                                        ; -- End function
	.section	.AMDGPU.csdata,"",@progbits
; Kernel info:
; codeLenInByte = 9016
; NumSgprs: 25
; NumVgprs: 191
; ScratchSize: 0
; MemoryBound: 0
; FloatMode: 240
; IeeeMode: 1
; LDSByteSize: 23040 bytes/workgroup (compile time only)
; SGPRBlocks: 3
; VGPRBlocks: 23
; NumSGPRsForWavesPerEU: 25
; NumVGPRsForWavesPerEU: 191
; Occupancy: 5
; WaveLimiterHint : 1
; COMPUTE_PGM_RSRC2:SCRATCH_EN: 0
; COMPUTE_PGM_RSRC2:USER_SGPR: 6
; COMPUTE_PGM_RSRC2:TRAP_HANDLER: 0
; COMPUTE_PGM_RSRC2:TGID_X_EN: 1
; COMPUTE_PGM_RSRC2:TGID_Y_EN: 0
; COMPUTE_PGM_RSRC2:TGID_Z_EN: 0
; COMPUTE_PGM_RSRC2:TIDIG_COMP_CNT: 0
	.text
	.p2alignl 6, 3214868480
	.fill 48, 4, 3214868480
	.type	__hip_cuid_14be6ac1e1fb4d92,@object ; @__hip_cuid_14be6ac1e1fb4d92
	.section	.bss,"aw",@nobits
	.globl	__hip_cuid_14be6ac1e1fb4d92
__hip_cuid_14be6ac1e1fb4d92:
	.byte	0                               ; 0x0
	.size	__hip_cuid_14be6ac1e1fb4d92, 1

	.ident	"AMD clang version 19.0.0git (https://github.com/RadeonOpenCompute/llvm-project roc-6.4.0 25133 c7fe45cf4b819c5991fe208aaa96edf142730f1d)"
	.section	".note.GNU-stack","",@progbits
	.addrsig
	.addrsig_sym __hip_cuid_14be6ac1e1fb4d92
	.amdgpu_metadata
---
amdhsa.kernels:
  - .args:
      - .actual_access:  read_only
        .address_space:  global
        .offset:         0
        .size:           8
        .value_kind:     global_buffer
      - .actual_access:  read_only
        .address_space:  global
        .offset:         8
        .size:           8
        .value_kind:     global_buffer
      - .actual_access:  read_only
        .address_space:  global
        .offset:         16
        .size:           8
        .value_kind:     global_buffer
      - .actual_access:  read_only
        .address_space:  global
        .offset:         24
        .size:           8
        .value_kind:     global_buffer
      - .actual_access:  read_only
        .address_space:  global
        .offset:         32
        .size:           8
        .value_kind:     global_buffer
      - .offset:         40
        .size:           8
        .value_kind:     by_value
      - .address_space:  global
        .offset:         48
        .size:           8
        .value_kind:     global_buffer
      - .address_space:  global
        .offset:         56
        .size:           8
        .value_kind:     global_buffer
      - .address_space:  global
        .offset:         64
        .size:           8
        .value_kind:     global_buffer
      - .address_space:  global
        .offset:         72
        .size:           8
        .value_kind:     global_buffer
      - .offset:         80
        .size:           4
        .value_kind:     by_value
      - .address_space:  global
        .offset:         88
        .size:           8
        .value_kind:     global_buffer
      - .address_space:  global
        .offset:         96
        .size:           8
        .value_kind:     global_buffer
    .group_segment_fixed_size: 23040
    .kernarg_segment_align: 8
    .kernarg_segment_size: 104
    .language:       OpenCL C
    .language_version:
      - 2
      - 0
    .max_flat_workgroup_size: 240
    .name:           bluestein_single_fwd_len360_dim1_dp_op_CI_CI
    .private_segment_fixed_size: 0
    .sgpr_count:     25
    .sgpr_spill_count: 0
    .symbol:         bluestein_single_fwd_len360_dim1_dp_op_CI_CI.kd
    .uniform_work_group_size: 1
    .uses_dynamic_stack: false
    .vgpr_count:     191
    .vgpr_spill_count: 0
    .wavefront_size: 32
    .workgroup_processor_mode: 1
amdhsa.target:   amdgcn-amd-amdhsa--gfx1030
amdhsa.version:
  - 1
  - 2
...

	.end_amdgpu_metadata
